;; amdgpu-corpus repo=pytorch/pytorch kind=compiled arch=gfx906 opt=O3
	.amdgcn_target "amdgcn-amd-amdhsa--gfx906"
	.amdhsa_code_object_version 6
	.section	.text._ZN2at6native12_GLOBAL__N_143linalg_eig_make_complex_eigenvectors_kernelIdEEvPN3c107complexIT_EEPKS6_PKS5_lll,"axG",@progbits,_ZN2at6native12_GLOBAL__N_143linalg_eig_make_complex_eigenvectors_kernelIdEEvPN3c107complexIT_EEPKS6_PKS5_lll,comdat
	.globl	_ZN2at6native12_GLOBAL__N_143linalg_eig_make_complex_eigenvectors_kernelIdEEvPN3c107complexIT_EEPKS6_PKS5_lll ; -- Begin function _ZN2at6native12_GLOBAL__N_143linalg_eig_make_complex_eigenvectors_kernelIdEEvPN3c107complexIT_EEPKS6_PKS5_lll
	.p2align	8
	.type	_ZN2at6native12_GLOBAL__N_143linalg_eig_make_complex_eigenvectors_kernelIdEEvPN3c107complexIT_EEPKS6_PKS5_lll,@function
_ZN2at6native12_GLOBAL__N_143linalg_eig_make_complex_eigenvectors_kernelIdEEvPN3c107complexIT_EEPKS6_PKS5_lll: ; @_ZN2at6native12_GLOBAL__N_143linalg_eig_make_complex_eigenvectors_kernelIdEEvPN3c107complexIT_EEPKS6_PKS5_lll
; %bb.0:
	s_load_dword s7, s[4:5], 0x3c
	s_load_dwordx4 s[0:3], s[4:5], 0x18
	v_mov_b32_e32 v3, 0
	s_waitcnt lgkmcnt(0)
	s_and_b32 s7, s7, 0xffff
	s_mul_i32 s6, s6, s7
	v_add_u32_e32 v2, s6, v0
	s_mul_i32 s6, s2, s3
	s_mul_hi_u32 s7, s2, s2
	s_add_i32 s7, s7, s6
	s_mul_i32 s12, s2, s2
	s_add_i32 s13, s7, s6
	s_mul_i32 s1, s12, s1
	s_mul_hi_u32 s6, s12, s0
	s_add_i32 s1, s6, s1
	s_mul_i32 s6, s13, s0
	s_add_i32 s1, s1, s6
	s_mul_i32 s0, s12, s0
	v_cmp_gt_i64_e32 vcc, s[0:1], v[2:3]
	s_and_saveexec_b64 s[0:1], vcc
	s_cbranch_execz .LBB0_16
; %bb.1:
	s_load_dwordx2 s[6:7], s[4:5], 0x28
	v_cmp_le_u64_e32 vcc, s[12:13], v[2:3]
	v_mov_b32_e32 v0, 0
	v_mov_b32_e32 v1, 0
	s_and_saveexec_b64 s[0:1], vcc
	s_cbranch_execz .LBB0_3
; %bb.2:
	v_cvt_f32_u32_e32 v0, s12
	s_sub_i32 s8, 0, s12
	v_rcp_iflag_f32_e32 v0, v0
	v_mul_f32_e32 v0, 0x4f7ffffe, v0
	v_cvt_u32_f32_e32 v0, v0
	v_mul_lo_u32 v1, s8, v0
	v_mul_hi_u32 v1, v0, v1
	v_add_u32_e32 v0, v0, v1
	v_mul_hi_u32 v0, v2, v0
	v_mul_lo_u32 v1, v0, s12
	v_add_u32_e32 v3, 1, v0
	v_sub_u32_e32 v1, v2, v1
	v_subrev_u32_e32 v4, s12, v1
	v_cmp_le_u32_e32 vcc, s12, v1
	v_cndmask_b32_e32 v1, v1, v4, vcc
	v_cndmask_b32_e32 v0, v0, v3, vcc
	v_add_u32_e32 v3, 1, v0
	v_cmp_le_u32_e32 vcc, s12, v1
	v_cndmask_b32_e32 v0, v0, v3, vcc
.LBB0_3:
	s_or_b64 exec, exec, s[0:1]
	v_mad_u64_u32 v[3:4], s[0:1], v0, s12, 0
	s_load_dwordx4 s[8:11], s[4:5], 0x8
                                        ; implicit-def: $vgpr8_vgpr9
	v_mov_b32_e32 v1, v4
	v_mad_u64_u32 v[5:6], s[0:1], v0, s13, v[1:2]
	v_sub_co_u32_e32 v4, vcc, v2, v3
	v_subb_co_u32_e32 v5, vcc, 0, v5, vcc
	v_or_b32_e32 v2, s3, v5
	v_mov_b32_e32 v1, 0
	v_cmp_ne_u64_e32 vcc, 0, v[1:2]
	s_and_saveexec_b64 s[0:1], vcc
	s_xor_b64 s[12:13], exec, s[0:1]
	s_cbranch_execz .LBB0_5
; %bb.4:
	s_ashr_i32 s14, s3, 31
	s_add_u32 s0, s2, s14
	s_mov_b32 s15, s14
	s_addc_u32 s1, s3, s14
	s_xor_b64 s[16:17], s[0:1], s[14:15]
	v_cvt_f32_u32_e32 v1, s16
	v_cvt_f32_u32_e32 v2, s17
	s_sub_u32 s15, 0, s16
	s_subb_u32 s18, 0, s17
	v_ashrrev_i32_e32 v3, 31, v5
	v_madmk_f32 v1, v2, 0x4f800000, v1
	v_rcp_f32_e32 v1, v1
	v_mul_f32_e32 v1, 0x5f7ffffc, v1
	v_mul_f32_e32 v2, 0x2f800000, v1
	v_trunc_f32_e32 v2, v2
	v_madmk_f32 v1, v2, 0xcf800000, v1
	v_cvt_u32_f32_e32 v2, v2
	v_cvt_u32_f32_e32 v1, v1
	v_readfirstlane_b32 s19, v2
	v_readfirstlane_b32 s0, v1
	s_mul_i32 s1, s15, s19
	s_mul_hi_u32 s21, s15, s0
	s_mul_i32 s20, s18, s0
	s_add_i32 s1, s21, s1
	s_add_i32 s1, s1, s20
	s_mul_i32 s22, s15, s0
	s_mul_i32 s21, s0, s1
	s_mul_hi_u32 s23, s0, s22
	s_mul_hi_u32 s20, s0, s1
	s_add_u32 s21, s23, s21
	s_addc_u32 s20, 0, s20
	s_mul_hi_u32 s24, s19, s22
	s_mul_i32 s22, s19, s22
	s_add_u32 s21, s21, s22
	s_mul_hi_u32 s23, s19, s1
	s_addc_u32 s20, s20, s24
	s_addc_u32 s21, s23, 0
	s_mul_i32 s1, s19, s1
	s_add_u32 s1, s20, s1
	s_addc_u32 s20, 0, s21
	s_add_u32 s21, s0, s1
	s_cselect_b64 s[0:1], -1, 0
	s_cmp_lg_u64 s[0:1], 0
	s_addc_u32 s19, s19, s20
	s_mul_i32 s0, s15, s19
	s_mul_hi_u32 s1, s15, s21
	s_add_i32 s0, s1, s0
	s_mul_i32 s18, s18, s21
	s_add_i32 s0, s0, s18
	s_mul_i32 s15, s15, s21
	s_mul_hi_u32 s18, s19, s15
	s_mul_i32 s20, s19, s15
	s_mul_i32 s23, s21, s0
	s_mul_hi_u32 s15, s21, s15
	s_mul_hi_u32 s22, s21, s0
	s_add_u32 s15, s15, s23
	s_addc_u32 s22, 0, s22
	s_add_u32 s15, s15, s20
	s_mul_hi_u32 s1, s19, s0
	s_addc_u32 s15, s22, s18
	s_addc_u32 s1, s1, 0
	s_mul_i32 s0, s19, s0
	s_add_u32 s0, s15, s0
	s_addc_u32 s15, 0, s1
	s_add_u32 s18, s21, s0
	s_cselect_b64 s[0:1], -1, 0
	s_cmp_lg_u64 s[0:1], 0
	v_add_co_u32_e32 v1, vcc, v4, v3
	s_addc_u32 s15, s19, s15
	v_xor_b32_e32 v8, v1, v3
	v_mad_u64_u32 v[1:2], s[0:1], v8, s15, 0
	v_mul_hi_u32 v7, v8, s18
	v_addc_co_u32_e32 v6, vcc, v5, v3, vcc
	v_xor_b32_e32 v9, v6, v3
	v_add_co_u32_e32 v10, vcc, v7, v1
	v_addc_co_u32_e32 v11, vcc, 0, v2, vcc
	v_mad_u64_u32 v[1:2], s[0:1], v9, s18, 0
	v_mad_u64_u32 v[6:7], s[0:1], v9, s15, 0
	v_add_co_u32_e32 v1, vcc, v10, v1
	v_addc_co_u32_e32 v1, vcc, v11, v2, vcc
	v_addc_co_u32_e32 v2, vcc, 0, v7, vcc
	v_add_co_u32_e32 v6, vcc, v1, v6
	v_addc_co_u32_e32 v7, vcc, 0, v2, vcc
	v_mul_lo_u32 v10, s17, v6
	v_mul_lo_u32 v11, s16, v7
	v_mad_u64_u32 v[1:2], s[0:1], s16, v6, 0
	v_xor_b32_e32 v3, s14, v3
	v_add3_u32 v2, v2, v11, v10
	v_sub_u32_e32 v10, v9, v2
	v_mov_b32_e32 v11, s17
	v_sub_co_u32_e32 v1, vcc, v8, v1
	v_subb_co_u32_e64 v8, s[0:1], v10, v11, vcc
	v_subrev_co_u32_e64 v10, s[0:1], s16, v1
	v_subbrev_co_u32_e64 v8, s[0:1], 0, v8, s[0:1]
	v_cmp_le_u32_e64 s[0:1], s17, v8
	v_cndmask_b32_e64 v11, 0, -1, s[0:1]
	v_cmp_le_u32_e64 s[0:1], s16, v10
	v_cndmask_b32_e64 v10, 0, -1, s[0:1]
	v_cmp_eq_u32_e64 s[0:1], s17, v8
	v_cndmask_b32_e64 v8, v11, v10, s[0:1]
	v_add_co_u32_e64 v10, s[0:1], 2, v6
	v_subb_co_u32_e32 v2, vcc, v9, v2, vcc
	v_addc_co_u32_e64 v11, s[0:1], 0, v7, s[0:1]
	v_cmp_le_u32_e32 vcc, s17, v2
	v_add_co_u32_e64 v12, s[0:1], 1, v6
	v_cndmask_b32_e64 v9, 0, -1, vcc
	v_cmp_le_u32_e32 vcc, s16, v1
	v_addc_co_u32_e64 v13, s[0:1], 0, v7, s[0:1]
	v_cndmask_b32_e64 v1, 0, -1, vcc
	v_cmp_eq_u32_e32 vcc, s17, v2
	v_cmp_ne_u32_e64 s[0:1], 0, v8
	v_cndmask_b32_e32 v1, v9, v1, vcc
	v_cmp_ne_u32_e32 vcc, 0, v1
	v_cndmask_b32_e64 v2, v12, v10, s[0:1]
	v_cndmask_b32_e64 v8, v13, v11, s[0:1]
	v_cndmask_b32_e32 v2, v6, v2, vcc
	v_cndmask_b32_e32 v1, v7, v8, vcc
	v_xor_b32_e32 v2, v2, v3
	v_xor_b32_e32 v1, v1, v3
	v_sub_co_u32_e32 v8, vcc, v2, v3
	v_subb_co_u32_e32 v9, vcc, v1, v3, vcc
.LBB0_5:
	s_andn2_saveexec_b64 s[0:1], s[12:13]
	s_cbranch_execz .LBB0_7
; %bb.6:
	v_cvt_f32_u32_e32 v1, s2
	s_sub_i32 s12, 0, s2
	v_mov_b32_e32 v9, 0
	v_rcp_iflag_f32_e32 v1, v1
	v_mul_f32_e32 v1, 0x4f7ffffe, v1
	v_cvt_u32_f32_e32 v1, v1
	v_mul_lo_u32 v2, s12, v1
	v_mul_hi_u32 v2, v1, v2
	v_add_u32_e32 v1, v1, v2
	v_mul_hi_u32 v1, v4, v1
	v_mul_lo_u32 v2, v1, s2
	v_add_u32_e32 v3, 1, v1
	v_sub_u32_e32 v2, v4, v2
	v_subrev_u32_e32 v6, s2, v2
	v_cmp_le_u32_e32 vcc, s2, v2
	v_cndmask_b32_e32 v2, v2, v6, vcc
	v_cndmask_b32_e32 v1, v1, v3, vcc
	v_add_u32_e32 v3, 1, v1
	v_cmp_le_u32_e32 vcc, s2, v2
	v_cndmask_b32_e32 v8, v1, v3, vcc
.LBB0_7:
	s_or_b64 exec, exec, s[0:1]
	v_mad_u64_u32 v[1:2], s[0:1], v0, s2, 0
	v_lshlrev_b64 v[6:7], 4, v[8:9]
	s_load_dwordx2 s[4:5], s[4:5], 0x0
	v_mad_u64_u32 v[2:3], s[0:1], v0, s3, v[2:3]
	s_waitcnt lgkmcnt(0)
	v_mov_b32_e32 v3, s9
	v_lshlrev_b64 v[1:2], 4, v[1:2]
	v_add_co_u32_e32 v1, vcc, s8, v1
	v_addc_co_u32_e32 v2, vcc, v3, v2, vcc
	v_add_co_u32_e32 v1, vcc, v1, v6
	v_addc_co_u32_e32 v2, vcc, v2, v7, vcc
	global_load_dwordx2 v[10:11], v[1:2], off offset:8
	v_mad_u64_u32 v[6:7], s[0:1], v0, s6, 0
	v_mov_b32_e32 v1, v7
	v_mad_u64_u32 v[0:1], s[0:1], v0, s7, v[1:2]
	v_mov_b32_e32 v2, s11
	v_mov_b32_e32 v7, v0
	v_lshlrev_b64 v[0:1], 3, v[6:7]
	v_add_co_u32_e64 v12, s[0:1], s10, v0
	v_addc_co_u32_e64 v13, s[0:1], v2, v1, s[0:1]
                                        ; implicit-def: $vgpr2_vgpr3
                                        ; implicit-def: $vgpr0_vgpr1
	s_waitcnt vmcnt(0)
	v_cmp_neq_f64_e32 vcc, 0, v[10:11]
	s_and_saveexec_b64 s[0:1], vcc
	s_xor_b64 s[6:7], exec, s[0:1]
	s_cbranch_execz .LBB0_13
; %bb.8:
	v_mul_lo_u32 v0, v9, s2
	v_mul_lo_u32 v1, v8, s3
	v_mad_u64_u32 v[8:9], s[0:1], v8, s2, 0
	v_cmp_nlt_f64_e32 vcc, 0, v[10:11]
                                        ; implicit-def: $vgpr2_vgpr3
	v_add3_u32 v9, v9, v1, v0
	v_sub_co_u32_e64 v0, s[0:1], v4, v8
	v_subb_co_u32_e64 v1, s[0:1], v5, v9, s[0:1]
	v_lshlrev_b64 v[10:11], 3, v[0:1]
                                        ; implicit-def: $vgpr0_vgpr1
	s_and_saveexec_b64 s[0:1], vcc
	s_xor_b64 s[0:1], exec, s[0:1]
	s_cbranch_execz .LBB0_10
; %bb.9:
	v_lshlrev_b64 v[0:1], 3, v[4:5]
	v_add_co_u32_e32 v0, vcc, v12, v0
	v_addc_co_u32_e32 v1, vcc, v13, v1, vcc
	global_load_dwordx2 v[2:3], v[0:1], off
	v_mov_b32_e32 v1, s3
	v_subrev_co_u32_e32 v0, vcc, s2, v8
	v_subb_co_u32_e32 v1, vcc, v9, v1, vcc
	v_lshlrev_b64 v[0:1], 3, v[0:1]
                                        ; implicit-def: $vgpr8_vgpr9
	v_add_co_u32_e32 v0, vcc, v12, v0
	v_addc_co_u32_e32 v1, vcc, v13, v1, vcc
	v_add_co_u32_e32 v0, vcc, v0, v10
	v_addc_co_u32_e32 v1, vcc, v1, v11, vcc
                                        ; implicit-def: $vgpr12
                                        ; implicit-def: $vgpr13
                                        ; implicit-def: $vgpr10_vgpr11
	s_waitcnt vmcnt(0)
	v_xor_b32_e32 v3, 0x80000000, v3
.LBB0_10:
	s_andn2_saveexec_b64 s[0:1], s[0:1]
	s_cbranch_execz .LBB0_12
; %bb.11:
	v_mov_b32_e32 v1, s3
	v_add_co_u32_e32 v0, vcc, s2, v8
	v_addc_co_u32_e32 v1, vcc, v9, v1, vcc
	v_lshlrev_b64 v[0:1], 3, v[0:1]
	v_add_co_u32_e32 v0, vcc, v12, v0
	v_addc_co_u32_e32 v1, vcc, v13, v1, vcc
	v_add_co_u32_e32 v0, vcc, v0, v10
	v_addc_co_u32_e32 v1, vcc, v1, v11, vcc
	global_load_dwordx2 v[2:3], v[0:1], off
	v_lshlrev_b64 v[0:1], 3, v[4:5]
	v_add_co_u32_e32 v0, vcc, v12, v0
	v_addc_co_u32_e32 v1, vcc, v13, v1, vcc
.LBB0_12:
	s_or_b64 exec, exec, s[0:1]
                                        ; implicit-def: $vgpr12
                                        ; implicit-def: $vgpr13
.LBB0_13:
	s_andn2_saveexec_b64 s[0:1], s[6:7]
	s_cbranch_execz .LBB0_15
; %bb.14:
	v_lshlrev_b64 v[0:1], 3, v[4:5]
	s_waitcnt vmcnt(0)
	v_mov_b32_e32 v2, 0
	v_add_co_u32_e32 v0, vcc, v12, v0
	v_mov_b32_e32 v3, 0
	v_addc_co_u32_e32 v1, vcc, v13, v1, vcc
.LBB0_15:
	s_or_b64 exec, exec, s[0:1]
	global_load_dwordx2 v[0:1], v[0:1], off
	v_lshlrev_b64 v[6:7], 4, v[6:7]
	v_mov_b32_e32 v8, s5
	v_add_co_u32_e32 v6, vcc, s4, v6
	v_lshlrev_b64 v[4:5], 4, v[4:5]
	v_addc_co_u32_e32 v7, vcc, v8, v7, vcc
	v_add_co_u32_e32 v4, vcc, v6, v4
	v_addc_co_u32_e32 v5, vcc, v7, v5, vcc
	s_waitcnt vmcnt(0)
	global_store_dwordx4 v[4:5], v[0:3], off
.LBB0_16:
	s_endpgm
	.section	.rodata,"a",@progbits
	.p2align	6, 0x0
	.amdhsa_kernel _ZN2at6native12_GLOBAL__N_143linalg_eig_make_complex_eigenvectors_kernelIdEEvPN3c107complexIT_EEPKS6_PKS5_lll
		.amdhsa_group_segment_fixed_size 0
		.amdhsa_private_segment_fixed_size 0
		.amdhsa_kernarg_size 304
		.amdhsa_user_sgpr_count 6
		.amdhsa_user_sgpr_private_segment_buffer 1
		.amdhsa_user_sgpr_dispatch_ptr 0
		.amdhsa_user_sgpr_queue_ptr 0
		.amdhsa_user_sgpr_kernarg_segment_ptr 1
		.amdhsa_user_sgpr_dispatch_id 0
		.amdhsa_user_sgpr_flat_scratch_init 0
		.amdhsa_user_sgpr_private_segment_size 0
		.amdhsa_uses_dynamic_stack 0
		.amdhsa_system_sgpr_private_segment_wavefront_offset 0
		.amdhsa_system_sgpr_workgroup_id_x 1
		.amdhsa_system_sgpr_workgroup_id_y 0
		.amdhsa_system_sgpr_workgroup_id_z 0
		.amdhsa_system_sgpr_workgroup_info 0
		.amdhsa_system_vgpr_workitem_id 0
		.amdhsa_next_free_vgpr 14
		.amdhsa_next_free_sgpr 25
		.amdhsa_reserve_vcc 1
		.amdhsa_reserve_flat_scratch 0
		.amdhsa_float_round_mode_32 0
		.amdhsa_float_round_mode_16_64 0
		.amdhsa_float_denorm_mode_32 3
		.amdhsa_float_denorm_mode_16_64 3
		.amdhsa_dx10_clamp 1
		.amdhsa_ieee_mode 1
		.amdhsa_fp16_overflow 0
		.amdhsa_exception_fp_ieee_invalid_op 0
		.amdhsa_exception_fp_denorm_src 0
		.amdhsa_exception_fp_ieee_div_zero 0
		.amdhsa_exception_fp_ieee_overflow 0
		.amdhsa_exception_fp_ieee_underflow 0
		.amdhsa_exception_fp_ieee_inexact 0
		.amdhsa_exception_int_div_zero 0
	.end_amdhsa_kernel
	.section	.text._ZN2at6native12_GLOBAL__N_143linalg_eig_make_complex_eigenvectors_kernelIdEEvPN3c107complexIT_EEPKS6_PKS5_lll,"axG",@progbits,_ZN2at6native12_GLOBAL__N_143linalg_eig_make_complex_eigenvectors_kernelIdEEvPN3c107complexIT_EEPKS6_PKS5_lll,comdat
.Lfunc_end0:
	.size	_ZN2at6native12_GLOBAL__N_143linalg_eig_make_complex_eigenvectors_kernelIdEEvPN3c107complexIT_EEPKS6_PKS5_lll, .Lfunc_end0-_ZN2at6native12_GLOBAL__N_143linalg_eig_make_complex_eigenvectors_kernelIdEEvPN3c107complexIT_EEPKS6_PKS5_lll
                                        ; -- End function
	.set _ZN2at6native12_GLOBAL__N_143linalg_eig_make_complex_eigenvectors_kernelIdEEvPN3c107complexIT_EEPKS6_PKS5_lll.num_vgpr, 14
	.set _ZN2at6native12_GLOBAL__N_143linalg_eig_make_complex_eigenvectors_kernelIdEEvPN3c107complexIT_EEPKS6_PKS5_lll.num_agpr, 0
	.set _ZN2at6native12_GLOBAL__N_143linalg_eig_make_complex_eigenvectors_kernelIdEEvPN3c107complexIT_EEPKS6_PKS5_lll.numbered_sgpr, 25
	.set _ZN2at6native12_GLOBAL__N_143linalg_eig_make_complex_eigenvectors_kernelIdEEvPN3c107complexIT_EEPKS6_PKS5_lll.num_named_barrier, 0
	.set _ZN2at6native12_GLOBAL__N_143linalg_eig_make_complex_eigenvectors_kernelIdEEvPN3c107complexIT_EEPKS6_PKS5_lll.private_seg_size, 0
	.set _ZN2at6native12_GLOBAL__N_143linalg_eig_make_complex_eigenvectors_kernelIdEEvPN3c107complexIT_EEPKS6_PKS5_lll.uses_vcc, 1
	.set _ZN2at6native12_GLOBAL__N_143linalg_eig_make_complex_eigenvectors_kernelIdEEvPN3c107complexIT_EEPKS6_PKS5_lll.uses_flat_scratch, 0
	.set _ZN2at6native12_GLOBAL__N_143linalg_eig_make_complex_eigenvectors_kernelIdEEvPN3c107complexIT_EEPKS6_PKS5_lll.has_dyn_sized_stack, 0
	.set _ZN2at6native12_GLOBAL__N_143linalg_eig_make_complex_eigenvectors_kernelIdEEvPN3c107complexIT_EEPKS6_PKS5_lll.has_recursion, 0
	.set _ZN2at6native12_GLOBAL__N_143linalg_eig_make_complex_eigenvectors_kernelIdEEvPN3c107complexIT_EEPKS6_PKS5_lll.has_indirect_call, 0
	.section	.AMDGPU.csdata,"",@progbits
; Kernel info:
; codeLenInByte = 1468
; TotalNumSgprs: 29
; NumVgprs: 14
; ScratchSize: 0
; MemoryBound: 0
; FloatMode: 240
; IeeeMode: 1
; LDSByteSize: 0 bytes/workgroup (compile time only)
; SGPRBlocks: 3
; VGPRBlocks: 3
; NumSGPRsForWavesPerEU: 29
; NumVGPRsForWavesPerEU: 14
; Occupancy: 10
; WaveLimiterHint : 0
; COMPUTE_PGM_RSRC2:SCRATCH_EN: 0
; COMPUTE_PGM_RSRC2:USER_SGPR: 6
; COMPUTE_PGM_RSRC2:TRAP_HANDLER: 0
; COMPUTE_PGM_RSRC2:TGID_X_EN: 1
; COMPUTE_PGM_RSRC2:TGID_Y_EN: 0
; COMPUTE_PGM_RSRC2:TGID_Z_EN: 0
; COMPUTE_PGM_RSRC2:TIDIG_COMP_CNT: 0
	.section	.text._ZN2at6native12_GLOBAL__N_143linalg_eig_make_complex_eigenvectors_kernelIfEEvPN3c107complexIT_EEPKS6_PKS5_lll,"axG",@progbits,_ZN2at6native12_GLOBAL__N_143linalg_eig_make_complex_eigenvectors_kernelIfEEvPN3c107complexIT_EEPKS6_PKS5_lll,comdat
	.globl	_ZN2at6native12_GLOBAL__N_143linalg_eig_make_complex_eigenvectors_kernelIfEEvPN3c107complexIT_EEPKS6_PKS5_lll ; -- Begin function _ZN2at6native12_GLOBAL__N_143linalg_eig_make_complex_eigenvectors_kernelIfEEvPN3c107complexIT_EEPKS6_PKS5_lll
	.p2align	8
	.type	_ZN2at6native12_GLOBAL__N_143linalg_eig_make_complex_eigenvectors_kernelIfEEvPN3c107complexIT_EEPKS6_PKS5_lll,@function
_ZN2at6native12_GLOBAL__N_143linalg_eig_make_complex_eigenvectors_kernelIfEEvPN3c107complexIT_EEPKS6_PKS5_lll: ; @_ZN2at6native12_GLOBAL__N_143linalg_eig_make_complex_eigenvectors_kernelIfEEvPN3c107complexIT_EEPKS6_PKS5_lll
; %bb.0:
	s_load_dword s7, s[4:5], 0x3c
	s_load_dwordx4 s[0:3], s[4:5], 0x18
	v_mov_b32_e32 v1, 0
	s_waitcnt lgkmcnt(0)
	s_and_b32 s7, s7, 0xffff
	s_mul_i32 s6, s6, s7
	v_add_u32_e32 v0, s6, v0
	s_mul_i32 s6, s2, s3
	s_mul_hi_u32 s7, s2, s2
	s_add_i32 s7, s7, s6
	s_mul_i32 s14, s2, s2
	s_add_i32 s15, s7, s6
	s_mul_i32 s1, s14, s1
	s_mul_hi_u32 s6, s14, s0
	s_add_i32 s1, s6, s1
	s_mul_i32 s6, s15, s0
	s_add_i32 s1, s1, s6
	s_mul_i32 s0, s14, s0
	v_cmp_gt_i64_e32 vcc, s[0:1], v[0:1]
	s_and_saveexec_b64 s[0:1], vcc
	s_cbranch_execz .LBB1_15
; %bb.1:
	s_load_dwordx2 s[6:7], s[4:5], 0x28
	v_cmp_le_u64_e32 vcc, s[14:15], v[0:1]
	v_mov_b32_e32 v2, 0
	v_mov_b32_e32 v3, 0
	s_and_saveexec_b64 s[0:1], vcc
	s_cbranch_execz .LBB1_3
; %bb.2:
	v_cvt_f32_u32_e32 v1, s14
	s_sub_i32 s8, 0, s14
	v_rcp_iflag_f32_e32 v1, v1
	v_mul_f32_e32 v1, 0x4f7ffffe, v1
	v_cvt_u32_f32_e32 v1, v1
	v_mul_lo_u32 v2, s8, v1
	v_mul_hi_u32 v2, v1, v2
	v_add_u32_e32 v1, v1, v2
	v_mul_hi_u32 v1, v0, v1
	v_mul_lo_u32 v2, v1, s14
	v_add_u32_e32 v3, 1, v1
	v_sub_u32_e32 v2, v0, v2
	v_subrev_u32_e32 v4, s14, v2
	v_cmp_le_u32_e32 vcc, s14, v2
	v_cndmask_b32_e32 v2, v2, v4, vcc
	v_cndmask_b32_e32 v1, v1, v3, vcc
	v_add_u32_e32 v3, 1, v1
	v_cmp_le_u32_e32 vcc, s14, v2
	v_cndmask_b32_e32 v2, v1, v3, vcc
.LBB1_3:
	s_or_b64 exec, exec, s[0:1]
	v_mad_u64_u32 v[3:4], s[0:1], v2, s14, 0
	s_load_dwordx4 s[8:11], s[4:5], 0x0
	s_load_dwordx2 s[12:13], s[4:5], 0x10
	v_mov_b32_e32 v1, v4
	v_mad_u64_u32 v[4:5], s[0:1], v2, s15, v[1:2]
	v_sub_co_u32_e32 v0, vcc, v0, v3
	v_subb_co_u32_e32 v1, vcc, 0, v4, vcc
	v_or_b32_e32 v4, s3, v1
	v_mov_b32_e32 v3, 0
	v_cmp_ne_u64_e32 vcc, 0, v[3:4]
                                        ; implicit-def: $vgpr3_vgpr4
	s_and_saveexec_b64 s[0:1], vcc
	s_xor_b64 s[4:5], exec, s[0:1]
	s_cbranch_execz .LBB1_5
; %bb.4:
	s_ashr_i32 s14, s3, 31
	s_add_u32 s0, s2, s14
	s_mov_b32 s15, s14
	s_addc_u32 s1, s3, s14
	s_xor_b64 s[16:17], s[0:1], s[14:15]
	v_cvt_f32_u32_e32 v3, s16
	v_cvt_f32_u32_e32 v4, s17
	s_sub_u32 s15, 0, s16
	s_subb_u32 s18, 0, s17
	v_ashrrev_i32_e32 v7, 31, v1
	v_madmk_f32 v3, v4, 0x4f800000, v3
	v_rcp_f32_e32 v3, v3
	v_mul_f32_e32 v3, 0x5f7ffffc, v3
	v_mul_f32_e32 v4, 0x2f800000, v3
	v_trunc_f32_e32 v4, v4
	v_madmk_f32 v3, v4, 0xcf800000, v3
	v_cvt_u32_f32_e32 v4, v4
	v_cvt_u32_f32_e32 v3, v3
	v_readfirstlane_b32 s19, v4
	v_readfirstlane_b32 s0, v3
	s_mul_i32 s1, s15, s19
	s_mul_hi_u32 s21, s15, s0
	s_mul_i32 s20, s18, s0
	s_add_i32 s1, s21, s1
	s_add_i32 s1, s1, s20
	s_mul_i32 s22, s15, s0
	s_mul_i32 s21, s0, s1
	s_mul_hi_u32 s23, s0, s22
	s_mul_hi_u32 s20, s0, s1
	s_add_u32 s21, s23, s21
	s_addc_u32 s20, 0, s20
	s_mul_hi_u32 s24, s19, s22
	s_mul_i32 s22, s19, s22
	s_add_u32 s21, s21, s22
	s_mul_hi_u32 s23, s19, s1
	s_addc_u32 s20, s20, s24
	s_addc_u32 s21, s23, 0
	s_mul_i32 s1, s19, s1
	s_add_u32 s1, s20, s1
	s_addc_u32 s20, 0, s21
	s_add_u32 s21, s0, s1
	s_cselect_b64 s[0:1], -1, 0
	s_cmp_lg_u64 s[0:1], 0
	s_addc_u32 s19, s19, s20
	s_mul_i32 s0, s15, s19
	s_mul_hi_u32 s1, s15, s21
	s_add_i32 s0, s1, s0
	s_mul_i32 s18, s18, s21
	s_add_i32 s0, s0, s18
	s_mul_i32 s15, s15, s21
	s_mul_hi_u32 s18, s19, s15
	s_mul_i32 s20, s19, s15
	s_mul_i32 s23, s21, s0
	s_mul_hi_u32 s15, s21, s15
	s_mul_hi_u32 s22, s21, s0
	s_add_u32 s15, s15, s23
	s_addc_u32 s22, 0, s22
	s_add_u32 s15, s15, s20
	s_mul_hi_u32 s1, s19, s0
	s_addc_u32 s15, s22, s18
	s_addc_u32 s1, s1, 0
	s_mul_i32 s0, s19, s0
	s_add_u32 s0, s15, s0
	s_addc_u32 s15, 0, s1
	s_add_u32 s18, s21, s0
	s_cselect_b64 s[0:1], -1, 0
	s_cmp_lg_u64 s[0:1], 0
	v_add_co_u32_e32 v3, vcc, v0, v7
	s_addc_u32 s15, s19, s15
	v_xor_b32_e32 v8, v3, v7
	v_mad_u64_u32 v[3:4], s[0:1], v8, s15, 0
	v_mul_hi_u32 v6, v8, s18
	v_addc_co_u32_e32 v5, vcc, v1, v7, vcc
	v_xor_b32_e32 v9, v5, v7
	v_add_co_u32_e32 v10, vcc, v6, v3
	v_addc_co_u32_e32 v11, vcc, 0, v4, vcc
	v_mad_u64_u32 v[3:4], s[0:1], v9, s18, 0
	v_mad_u64_u32 v[5:6], s[0:1], v9, s15, 0
	v_add_co_u32_e32 v3, vcc, v10, v3
	v_addc_co_u32_e32 v3, vcc, v11, v4, vcc
	v_addc_co_u32_e32 v4, vcc, 0, v6, vcc
	v_add_co_u32_e32 v5, vcc, v3, v5
	v_addc_co_u32_e32 v6, vcc, 0, v4, vcc
	v_mul_lo_u32 v10, s17, v5
	v_mul_lo_u32 v11, s16, v6
	v_mad_u64_u32 v[3:4], s[0:1], s16, v5, 0
	v_add3_u32 v4, v4, v11, v10
	v_sub_u32_e32 v10, v9, v4
	v_mov_b32_e32 v11, s17
	v_sub_co_u32_e32 v3, vcc, v8, v3
	v_subb_co_u32_e64 v8, s[0:1], v10, v11, vcc
	v_subrev_co_u32_e64 v10, s[0:1], s16, v3
	v_subbrev_co_u32_e64 v8, s[0:1], 0, v8, s[0:1]
	v_cmp_le_u32_e64 s[0:1], s17, v8
	v_cndmask_b32_e64 v11, 0, -1, s[0:1]
	v_cmp_le_u32_e64 s[0:1], s16, v10
	v_cndmask_b32_e64 v10, 0, -1, s[0:1]
	v_cmp_eq_u32_e64 s[0:1], s17, v8
	v_cndmask_b32_e64 v8, v11, v10, s[0:1]
	v_add_co_u32_e64 v10, s[0:1], 2, v5
	v_subb_co_u32_e32 v4, vcc, v9, v4, vcc
	v_addc_co_u32_e64 v11, s[0:1], 0, v6, s[0:1]
	v_cmp_le_u32_e32 vcc, s17, v4
	v_add_co_u32_e64 v12, s[0:1], 1, v5
	v_cndmask_b32_e64 v9, 0, -1, vcc
	v_cmp_le_u32_e32 vcc, s16, v3
	v_addc_co_u32_e64 v13, s[0:1], 0, v6, s[0:1]
	v_cndmask_b32_e64 v3, 0, -1, vcc
	v_cmp_eq_u32_e32 vcc, s17, v4
	v_cmp_ne_u32_e64 s[0:1], 0, v8
	v_cndmask_b32_e32 v3, v9, v3, vcc
	v_cndmask_b32_e64 v8, v13, v11, s[0:1]
	v_cmp_ne_u32_e32 vcc, 0, v3
	v_cndmask_b32_e64 v4, v12, v10, s[0:1]
	v_cndmask_b32_e32 v3, v6, v8, vcc
	v_cndmask_b32_e32 v4, v5, v4, vcc
	v_xor_b32_e32 v5, s14, v7
	v_xor_b32_e32 v6, v3, v5
	;; [unrolled: 1-line block ×3, first 2 shown]
	v_sub_co_u32_e32 v3, vcc, v3, v5
	v_subb_co_u32_e32 v4, vcc, v6, v5, vcc
.LBB1_5:
	s_andn2_saveexec_b64 s[0:1], s[4:5]
	s_cbranch_execz .LBB1_7
; %bb.6:
	v_cvt_f32_u32_e32 v3, s2
	s_sub_i32 s4, 0, s2
	v_rcp_iflag_f32_e32 v3, v3
	v_mul_f32_e32 v3, 0x4f7ffffe, v3
	v_cvt_u32_f32_e32 v3, v3
	v_mul_lo_u32 v4, s4, v3
	v_mul_hi_u32 v4, v3, v4
	v_add_u32_e32 v3, v3, v4
	v_mul_hi_u32 v3, v0, v3
	v_mul_lo_u32 v4, v3, s2
	v_add_u32_e32 v5, 1, v3
	v_sub_u32_e32 v4, v0, v4
	v_subrev_u32_e32 v6, s2, v4
	v_cmp_le_u32_e32 vcc, s2, v4
	v_cndmask_b32_e32 v4, v4, v6, vcc
	v_cndmask_b32_e32 v3, v3, v5, vcc
	v_add_u32_e32 v5, 1, v3
	v_cmp_le_u32_e32 vcc, s2, v4
	v_cndmask_b32_e32 v3, v3, v5, vcc
	v_mov_b32_e32 v4, 0
.LBB1_7:
	s_or_b64 exec, exec, s[0:1]
	v_mad_u64_u32 v[5:6], s[0:1], v2, s2, 0
	s_waitcnt lgkmcnt(0)
	v_mov_b32_e32 v9, s11
	v_mad_u64_u32 v[6:7], s[0:1], v2, s3, v[6:7]
	v_lshlrev_b64 v[7:8], 3, v[3:4]
	v_lshlrev_b64 v[5:6], 3, v[5:6]
	v_add_co_u32_e32 v5, vcc, s10, v5
	v_addc_co_u32_e32 v6, vcc, v9, v6, vcc
	v_add_co_u32_e32 v5, vcc, v5, v7
	v_addc_co_u32_e32 v6, vcc, v6, v8, vcc
	global_load_dword v10, v[5:6], off offset:4
	v_mad_u64_u32 v[5:6], s[0:1], v2, s6, 0
	v_mad_u64_u32 v[6:7], s[0:1], v2, s7, v[6:7]
	v_mov_b32_e32 v2, s13
	v_lshlrev_b64 v[8:9], 2, v[5:6]
	v_lshlrev_b64 v[6:7], 3, v[5:6]
	v_add_co_u32_e32 v8, vcc, s12, v8
	v_addc_co_u32_e32 v9, vcc, v2, v9, vcc
	v_mov_b32_e32 v2, s9
	v_add_co_u32_e32 v6, vcc, s8, v6
	v_addc_co_u32_e32 v7, vcc, v2, v7, vcc
	s_waitcnt vmcnt(0)
	v_cmp_neq_f32_e32 vcc, 0, v10
	s_and_saveexec_b64 s[0:1], vcc
	s_xor_b64 s[0:1], exec, s[0:1]
	s_cbranch_execz .LBB1_13
; %bb.8:
	v_mul_lo_u32 v2, v4, s2
	v_mul_lo_u32 v11, v3, s3
	v_mad_u64_u32 v[4:5], s[4:5], v3, s2, 0
	v_add3_u32 v5, v5, v11, v2
	v_sub_co_u32_e32 v2, vcc, v0, v4
	v_subb_co_u32_e32 v3, vcc, v1, v5, vcc
	v_lshlrev_b64 v[2:3], 2, v[2:3]
	v_cmp_nlt_f32_e32 vcc, 0, v10
	s_and_saveexec_b64 s[4:5], vcc
	s_xor_b64 s[4:5], exec, s[4:5]
	s_cbranch_execz .LBB1_10
; %bb.9:
	v_mov_b32_e32 v10, s3
	v_subrev_co_u32_e32 v4, vcc, s2, v4
	v_subb_co_u32_e32 v5, vcc, v5, v10, vcc
	v_lshlrev_b64 v[4:5], 2, v[4:5]
	v_add_co_u32_e32 v10, vcc, v8, v4
	v_addc_co_u32_e32 v11, vcc, v9, v5, vcc
	v_lshlrev_b64 v[4:5], 2, v[0:1]
	v_lshlrev_b64 v[0:1], 3, v[0:1]
	v_add_co_u32_e32 v4, vcc, v8, v4
	v_addc_co_u32_e32 v5, vcc, v9, v5, vcc
	v_add_co_u32_e32 v2, vcc, v10, v2
	global_load_dword v4, v[4:5], off
	v_addc_co_u32_e32 v3, vcc, v11, v3, vcc
	global_load_dword v2, v[2:3], off
	v_add_co_u32_e32 v0, vcc, v6, v0
	v_addc_co_u32_e32 v1, vcc, v7, v1, vcc
                                        ; implicit-def: $vgpr8
                                        ; implicit-def: $vgpr9
                                        ; implicit-def: $vgpr6
                                        ; implicit-def: $vgpr7
	s_waitcnt vmcnt(1)
	v_xor_b32_e32 v3, 0x80000000, v4
                                        ; implicit-def: $vgpr4_vgpr5
	s_waitcnt vmcnt(0)
	global_store_dwordx2 v[0:1], v[2:3], off
                                        ; implicit-def: $vgpr0_vgpr1
                                        ; implicit-def: $vgpr2_vgpr3
.LBB1_10:
	s_andn2_saveexec_b64 s[4:5], s[4:5]
	s_cbranch_execz .LBB1_12
; %bb.11:
	v_lshlrev_b64 v[10:11], 2, v[0:1]
	v_mov_b32_e32 v12, s3
	v_add_co_u32_e32 v10, vcc, v8, v10
	v_addc_co_u32_e32 v11, vcc, v9, v11, vcc
	v_add_co_u32_e32 v4, vcc, s2, v4
	v_addc_co_u32_e32 v5, vcc, v5, v12, vcc
	v_lshlrev_b64 v[4:5], 2, v[4:5]
	v_lshlrev_b64 v[0:1], 3, v[0:1]
	v_add_co_u32_e32 v4, vcc, v8, v4
	v_addc_co_u32_e32 v5, vcc, v9, v5, vcc
	v_add_co_u32_e32 v2, vcc, v4, v2
	v_addc_co_u32_e32 v3, vcc, v5, v3, vcc
	global_load_dword v4, v[10:11], off
	global_load_dword v5, v[2:3], off
	v_add_co_u32_e32 v0, vcc, v6, v0
	v_addc_co_u32_e32 v1, vcc, v7, v1, vcc
	s_waitcnt vmcnt(0)
	global_store_dwordx2 v[0:1], v[4:5], off
.LBB1_12:
	s_or_b64 exec, exec, s[4:5]
                                        ; implicit-def: $vgpr0_vgpr1
                                        ; implicit-def: $vgpr8
                                        ; implicit-def: $vgpr9
                                        ; implicit-def: $vgpr6
                                        ; implicit-def: $vgpr7
.LBB1_13:
	s_andn2_saveexec_b64 s[0:1], s[0:1]
	s_cbranch_execz .LBB1_15
; %bb.14:
	v_lshlrev_b64 v[2:3], 2, v[0:1]
	v_lshlrev_b64 v[0:1], 3, v[0:1]
	v_add_co_u32_e32 v2, vcc, v8, v2
	v_addc_co_u32_e32 v3, vcc, v9, v3, vcc
	global_load_dword v2, v[2:3], off
	v_add_co_u32_e32 v0, vcc, v6, v0
	v_addc_co_u32_e32 v1, vcc, v7, v1, vcc
	v_mov_b32_e32 v3, 0
	s_waitcnt vmcnt(0)
	global_store_dwordx2 v[0:1], v[2:3], off
.LBB1_15:
	s_endpgm
	.section	.rodata,"a",@progbits
	.p2align	6, 0x0
	.amdhsa_kernel _ZN2at6native12_GLOBAL__N_143linalg_eig_make_complex_eigenvectors_kernelIfEEvPN3c107complexIT_EEPKS6_PKS5_lll
		.amdhsa_group_segment_fixed_size 0
		.amdhsa_private_segment_fixed_size 0
		.amdhsa_kernarg_size 304
		.amdhsa_user_sgpr_count 6
		.amdhsa_user_sgpr_private_segment_buffer 1
		.amdhsa_user_sgpr_dispatch_ptr 0
		.amdhsa_user_sgpr_queue_ptr 0
		.amdhsa_user_sgpr_kernarg_segment_ptr 1
		.amdhsa_user_sgpr_dispatch_id 0
		.amdhsa_user_sgpr_flat_scratch_init 0
		.amdhsa_user_sgpr_private_segment_size 0
		.amdhsa_uses_dynamic_stack 0
		.amdhsa_system_sgpr_private_segment_wavefront_offset 0
		.amdhsa_system_sgpr_workgroup_id_x 1
		.amdhsa_system_sgpr_workgroup_id_y 0
		.amdhsa_system_sgpr_workgroup_id_z 0
		.amdhsa_system_sgpr_workgroup_info 0
		.amdhsa_system_vgpr_workitem_id 0
		.amdhsa_next_free_vgpr 14
		.amdhsa_next_free_sgpr 25
		.amdhsa_reserve_vcc 1
		.amdhsa_reserve_flat_scratch 0
		.amdhsa_float_round_mode_32 0
		.amdhsa_float_round_mode_16_64 0
		.amdhsa_float_denorm_mode_32 3
		.amdhsa_float_denorm_mode_16_64 3
		.amdhsa_dx10_clamp 1
		.amdhsa_ieee_mode 1
		.amdhsa_fp16_overflow 0
		.amdhsa_exception_fp_ieee_invalid_op 0
		.amdhsa_exception_fp_denorm_src 0
		.amdhsa_exception_fp_ieee_div_zero 0
		.amdhsa_exception_fp_ieee_overflow 0
		.amdhsa_exception_fp_ieee_underflow 0
		.amdhsa_exception_fp_ieee_inexact 0
		.amdhsa_exception_int_div_zero 0
	.end_amdhsa_kernel
	.section	.text._ZN2at6native12_GLOBAL__N_143linalg_eig_make_complex_eigenvectors_kernelIfEEvPN3c107complexIT_EEPKS6_PKS5_lll,"axG",@progbits,_ZN2at6native12_GLOBAL__N_143linalg_eig_make_complex_eigenvectors_kernelIfEEvPN3c107complexIT_EEPKS6_PKS5_lll,comdat
.Lfunc_end1:
	.size	_ZN2at6native12_GLOBAL__N_143linalg_eig_make_complex_eigenvectors_kernelIfEEvPN3c107complexIT_EEPKS6_PKS5_lll, .Lfunc_end1-_ZN2at6native12_GLOBAL__N_143linalg_eig_make_complex_eigenvectors_kernelIfEEvPN3c107complexIT_EEPKS6_PKS5_lll
                                        ; -- End function
	.set _ZN2at6native12_GLOBAL__N_143linalg_eig_make_complex_eigenvectors_kernelIfEEvPN3c107complexIT_EEPKS6_PKS5_lll.num_vgpr, 14
	.set _ZN2at6native12_GLOBAL__N_143linalg_eig_make_complex_eigenvectors_kernelIfEEvPN3c107complexIT_EEPKS6_PKS5_lll.num_agpr, 0
	.set _ZN2at6native12_GLOBAL__N_143linalg_eig_make_complex_eigenvectors_kernelIfEEvPN3c107complexIT_EEPKS6_PKS5_lll.numbered_sgpr, 25
	.set _ZN2at6native12_GLOBAL__N_143linalg_eig_make_complex_eigenvectors_kernelIfEEvPN3c107complexIT_EEPKS6_PKS5_lll.num_named_barrier, 0
	.set _ZN2at6native12_GLOBAL__N_143linalg_eig_make_complex_eigenvectors_kernelIfEEvPN3c107complexIT_EEPKS6_PKS5_lll.private_seg_size, 0
	.set _ZN2at6native12_GLOBAL__N_143linalg_eig_make_complex_eigenvectors_kernelIfEEvPN3c107complexIT_EEPKS6_PKS5_lll.uses_vcc, 1
	.set _ZN2at6native12_GLOBAL__N_143linalg_eig_make_complex_eigenvectors_kernelIfEEvPN3c107complexIT_EEPKS6_PKS5_lll.uses_flat_scratch, 0
	.set _ZN2at6native12_GLOBAL__N_143linalg_eig_make_complex_eigenvectors_kernelIfEEvPN3c107complexIT_EEPKS6_PKS5_lll.has_dyn_sized_stack, 0
	.set _ZN2at6native12_GLOBAL__N_143linalg_eig_make_complex_eigenvectors_kernelIfEEvPN3c107complexIT_EEPKS6_PKS5_lll.has_recursion, 0
	.set _ZN2at6native12_GLOBAL__N_143linalg_eig_make_complex_eigenvectors_kernelIfEEvPN3c107complexIT_EEPKS6_PKS5_lll.has_indirect_call, 0
	.section	.AMDGPU.csdata,"",@progbits
; Kernel info:
; codeLenInByte = 1504
; TotalNumSgprs: 29
; NumVgprs: 14
; ScratchSize: 0
; MemoryBound: 0
; FloatMode: 240
; IeeeMode: 1
; LDSByteSize: 0 bytes/workgroup (compile time only)
; SGPRBlocks: 3
; VGPRBlocks: 3
; NumSGPRsForWavesPerEU: 29
; NumVGPRsForWavesPerEU: 14
; Occupancy: 10
; WaveLimiterHint : 0
; COMPUTE_PGM_RSRC2:SCRATCH_EN: 0
; COMPUTE_PGM_RSRC2:USER_SGPR: 6
; COMPUTE_PGM_RSRC2:TRAP_HANDLER: 0
; COMPUTE_PGM_RSRC2:TGID_X_EN: 1
; COMPUTE_PGM_RSRC2:TGID_Y_EN: 0
; COMPUTE_PGM_RSRC2:TGID_Z_EN: 0
; COMPUTE_PGM_RSRC2:TIDIG_COMP_CNT: 0
	.section	.AMDGPU.gpr_maximums,"",@progbits
	.set amdgpu.max_num_vgpr, 0
	.set amdgpu.max_num_agpr, 0
	.set amdgpu.max_num_sgpr, 0
	.section	.AMDGPU.csdata,"",@progbits
	.type	__hip_cuid_3ea5c68fae1f0be1,@object ; @__hip_cuid_3ea5c68fae1f0be1
	.section	.bss,"aw",@nobits
	.globl	__hip_cuid_3ea5c68fae1f0be1
__hip_cuid_3ea5c68fae1f0be1:
	.byte	0                               ; 0x0
	.size	__hip_cuid_3ea5c68fae1f0be1, 1

	.ident	"AMD clang version 22.0.0git (https://github.com/RadeonOpenCompute/llvm-project roc-7.2.4 26084 f58b06dce1f9c15707c5f808fd002e18c2accf7e)"
	.section	".note.GNU-stack","",@progbits
	.addrsig
	.addrsig_sym __hip_cuid_3ea5c68fae1f0be1
	.amdgpu_metadata
---
amdhsa.kernels:
  - .args:
      - .actual_access:  write_only
        .address_space:  global
        .offset:         0
        .size:           8
        .value_kind:     global_buffer
      - .actual_access:  read_only
        .address_space:  global
        .offset:         8
        .size:           8
        .value_kind:     global_buffer
      - .actual_access:  read_only
        .address_space:  global
        .offset:         16
        .size:           8
        .value_kind:     global_buffer
      - .offset:         24
        .size:           8
        .value_kind:     by_value
      - .offset:         32
        .size:           8
        .value_kind:     by_value
      - .offset:         40
        .size:           8
        .value_kind:     by_value
      - .offset:         48
        .size:           4
        .value_kind:     hidden_block_count_x
      - .offset:         52
        .size:           4
        .value_kind:     hidden_block_count_y
      - .offset:         56
        .size:           4
        .value_kind:     hidden_block_count_z
      - .offset:         60
        .size:           2
        .value_kind:     hidden_group_size_x
      - .offset:         62
        .size:           2
        .value_kind:     hidden_group_size_y
      - .offset:         64
        .size:           2
        .value_kind:     hidden_group_size_z
      - .offset:         66
        .size:           2
        .value_kind:     hidden_remainder_x
      - .offset:         68
        .size:           2
        .value_kind:     hidden_remainder_y
      - .offset:         70
        .size:           2
        .value_kind:     hidden_remainder_z
      - .offset:         88
        .size:           8
        .value_kind:     hidden_global_offset_x
      - .offset:         96
        .size:           8
        .value_kind:     hidden_global_offset_y
      - .offset:         104
        .size:           8
        .value_kind:     hidden_global_offset_z
      - .offset:         112
        .size:           2
        .value_kind:     hidden_grid_dims
    .group_segment_fixed_size: 0
    .kernarg_segment_align: 8
    .kernarg_segment_size: 304
    .language:       OpenCL C
    .language_version:
      - 2
      - 0
    .max_flat_workgroup_size: 1024
    .name:           _ZN2at6native12_GLOBAL__N_143linalg_eig_make_complex_eigenvectors_kernelIdEEvPN3c107complexIT_EEPKS6_PKS5_lll
    .private_segment_fixed_size: 0
    .sgpr_count:     29
    .sgpr_spill_count: 0
    .symbol:         _ZN2at6native12_GLOBAL__N_143linalg_eig_make_complex_eigenvectors_kernelIdEEvPN3c107complexIT_EEPKS6_PKS5_lll.kd
    .uniform_work_group_size: 1
    .uses_dynamic_stack: false
    .vgpr_count:     14
    .vgpr_spill_count: 0
    .wavefront_size: 64
  - .args:
      - .actual_access:  write_only
        .address_space:  global
        .offset:         0
        .size:           8
        .value_kind:     global_buffer
      - .actual_access:  read_only
        .address_space:  global
        .offset:         8
        .size:           8
        .value_kind:     global_buffer
      - .actual_access:  read_only
        .address_space:  global
        .offset:         16
        .size:           8
        .value_kind:     global_buffer
      - .offset:         24
        .size:           8
        .value_kind:     by_value
      - .offset:         32
        .size:           8
        .value_kind:     by_value
      - .offset:         40
        .size:           8
        .value_kind:     by_value
      - .offset:         48
        .size:           4
        .value_kind:     hidden_block_count_x
      - .offset:         52
        .size:           4
        .value_kind:     hidden_block_count_y
      - .offset:         56
        .size:           4
        .value_kind:     hidden_block_count_z
      - .offset:         60
        .size:           2
        .value_kind:     hidden_group_size_x
      - .offset:         62
        .size:           2
        .value_kind:     hidden_group_size_y
      - .offset:         64
        .size:           2
        .value_kind:     hidden_group_size_z
      - .offset:         66
        .size:           2
        .value_kind:     hidden_remainder_x
      - .offset:         68
        .size:           2
        .value_kind:     hidden_remainder_y
      - .offset:         70
        .size:           2
        .value_kind:     hidden_remainder_z
      - .offset:         88
        .size:           8
        .value_kind:     hidden_global_offset_x
      - .offset:         96
        .size:           8
        .value_kind:     hidden_global_offset_y
      - .offset:         104
        .size:           8
        .value_kind:     hidden_global_offset_z
      - .offset:         112
        .size:           2
        .value_kind:     hidden_grid_dims
    .group_segment_fixed_size: 0
    .kernarg_segment_align: 8
    .kernarg_segment_size: 304
    .language:       OpenCL C
    .language_version:
      - 2
      - 0
    .max_flat_workgroup_size: 1024
    .name:           _ZN2at6native12_GLOBAL__N_143linalg_eig_make_complex_eigenvectors_kernelIfEEvPN3c107complexIT_EEPKS6_PKS5_lll
    .private_segment_fixed_size: 0
    .sgpr_count:     29
    .sgpr_spill_count: 0
    .symbol:         _ZN2at6native12_GLOBAL__N_143linalg_eig_make_complex_eigenvectors_kernelIfEEvPN3c107complexIT_EEPKS6_PKS5_lll.kd
    .uniform_work_group_size: 1
    .uses_dynamic_stack: false
    .vgpr_count:     14
    .vgpr_spill_count: 0
    .wavefront_size: 64
amdhsa.target:   amdgcn-amd-amdhsa--gfx906
amdhsa.version:
  - 1
  - 2
...

	.end_amdgpu_metadata
